;; amdgpu-corpus repo=zjin-lcf/HeCBench kind=compiled arch=gfx1100 opt=O3
	.text
	.amdgcn_target "amdgcn-amd-amdhsa--gfx1100"
	.amdhsa_code_object_version 6
	.protected	_Z14PetrinetKernelPiPfS_iii ; -- Begin function _Z14PetrinetKernelPiPfS_iii
	.globl	_Z14PetrinetKernelPiPfS_iii
	.p2align	8
	.type	_Z14PetrinetKernelPiPfS_iii,@function
_Z14PetrinetKernelPiPfS_iii:            ; @_Z14PetrinetKernelPiPfS_iii
; %bb.0:
	s_mov_b32 s6, s15
	s_clause 0x1
	s_load_b128 s[12:15], s[0:1], 0x18
	s_load_b64 s[2:3], s[0:1], 0x0
	s_mov_b32 s5, 0
	s_waitcnt lgkmcnt(0)
	s_mul_i32 s8, s12, s12
	s_delay_alu instid0(SALU_CYCLE_1) | instskip(SKIP_1) | instid1(SALU_CYCLE_1)
	s_lshl_b32 s7, s8, 1
	s_lshr_b32 s17, s8, 1
	s_add_i32 s4, s17, s7
	s_delay_alu instid0(SALU_CYCLE_1) | instskip(NEXT) | instid1(SALU_CYCLE_1)
	s_mul_i32 s4, s4, s6
	s_lshl_b64 s[4:5], s[4:5], 2
	s_delay_alu instid0(SALU_CYCLE_1)
	s_add_u32 s15, s2, s4
	s_addc_u32 s16, s3, s5
	s_lshr_b32 s18, s8, 9
	s_cmpk_gt_u32 s8, 0x1ff
	s_cselect_b32 s20, -1, 0
	s_cmpk_lt_u32 s8, 0x200
	s_cbranch_scc1 .LBB0_3
; %bb.1:
	v_dual_mov_b32 v2, 0 :: v_dual_mov_b32 v3, 0x1010101
	v_mov_b32_e32 v1, v0
	s_mov_b32 s2, s18
.LBB0_2:                                ; =>This Inner Loop Header: Depth=1
	s_delay_alu instid0(VALU_DEP_1) | instskip(SKIP_2) | instid1(SALU_CYCLE_1)
	v_lshlrev_b64 v[4:5], 2, v[1:2]
	v_add_nc_u32_e32 v1, 0x100, v1
	s_add_i32 s2, s2, -1
	s_cmp_lg_u32 s2, 0
	s_delay_alu instid0(VALU_DEP_2) | instskip(NEXT) | instid1(VALU_DEP_3)
	v_add_co_u32 v4, vcc_lo, s15, v4
	v_add_co_ci_u32_e32 v5, vcc_lo, s16, v5, vcc_lo
	global_store_b32 v[4:5], v3, off
	s_cbranch_scc1 .LBB0_2
.LBB0_3:
	s_lshl_b32 s19, s18, 8
	s_delay_alu instid0(SALU_CYCLE_1) | instskip(NEXT) | instid1(SALU_CYCLE_1)
	s_sub_i32 s2, s17, s19
	v_cmp_gt_u32_e32 vcc_lo, s2, v0
	s_and_saveexec_b32 s2, vcc_lo
	s_cbranch_execz .LBB0_5
; %bb.4:
	v_dual_mov_b32 v2, 0 :: v_dual_add_nc_u32 v1, s19, v0
	v_mov_b32_e32 v3, 0x1010101
	s_delay_alu instid0(VALU_DEP_2) | instskip(NEXT) | instid1(VALU_DEP_1)
	v_lshlrev_b64 v[1:2], 2, v[1:2]
	v_add_co_u32 v1, vcc_lo, s15, v1
	s_delay_alu instid0(VALU_DEP_2)
	v_add_co_ci_u32_e32 v2, vcc_lo, s16, v2, vcc_lo
	global_store_b32 v[1:2], v3, off
.LBB0_5:
	s_or_b32 exec_lo, exec_lo, s2
	s_load_b128 s[8:11], s[0:1], 0x8
	v_cmp_eq_u32_e64 s0, 0, v0
	s_delay_alu instid0(VALU_DEP_1)
	s_and_saveexec_b32 s1, s0
	s_cbranch_execz .LBB0_8
; %bb.6:
	s_add_i32 s5, s6, s14
	s_delay_alu instid0(SALU_CYCLE_1)
	v_dual_mov_b32 v1, 0 :: v_dual_mov_b32 v2, s5
	s_mov_b32 s2, 1
	s_mov_b32 s3, 7
	s_mov_b32 s4, 4
	ds_store_b32 v1, v2
.LBB0_7:                                ; =>This Inner Loop Header: Depth=1
	s_lshr_b32 s14, s5, 30
	s_delay_alu instid0(SALU_CYCLE_1) | instskip(NEXT) | instid1(SALU_CYCLE_1)
	s_xor_b32 s5, s14, s5
	s_mul_i32 s5, s5, 0x6c078965
	s_delay_alu instid0(SALU_CYCLE_1) | instskip(NEXT) | instid1(SALU_CYCLE_1)
	s_add_i32 s5, s3, s5
	s_add_i32 s5, s5, -6
	s_delay_alu instid0(SALU_CYCLE_1) | instskip(SKIP_3) | instid1(SALU_CYCLE_1)
	v_dual_mov_b32 v1, s4 :: v_dual_mov_b32 v2, s5
	s_lshr_b32 s14, s5, 30
	s_add_i32 s4, s4, 28
	s_xor_b32 s5, s14, s5
	s_mul_i32 s5, s5, 0x6c078965
	s_delay_alu instid0(SALU_CYCLE_1) | instskip(NEXT) | instid1(SALU_CYCLE_1)
	s_add_i32 s5, s3, s5
	s_add_i32 s5, s5, -5
	s_delay_alu instid0(SALU_CYCLE_1) | instskip(SKIP_2) | instid1(SALU_CYCLE_1)
	s_lshr_b32 s14, s5, 30
	v_mov_b32_e32 v3, s5
	s_xor_b32 s5, s14, s5
	s_mul_i32 s5, s5, 0x6c078965
	s_delay_alu instid0(SALU_CYCLE_1) | instskip(NEXT) | instid1(SALU_CYCLE_1)
	s_add_i32 s5, s3, s5
	s_add_i32 s5, s5, -4
	s_delay_alu instid0(SALU_CYCLE_1) | instskip(SKIP_1) | instid1(SALU_CYCLE_1)
	v_mov_b32_e32 v4, s5
	s_lshr_b32 s14, s5, 30
	s_xor_b32 s5, s14, s5
	s_delay_alu instid0(SALU_CYCLE_1) | instskip(NEXT) | instid1(SALU_CYCLE_1)
	s_mul_i32 s5, s5, 0x6c078965
	s_add_i32 s5, s3, s5
	s_delay_alu instid0(SALU_CYCLE_1) | instskip(NEXT) | instid1(SALU_CYCLE_1)
	s_add_i32 s5, s5, -3
	s_lshr_b32 s14, s5, 30
	v_mov_b32_e32 v5, s5
	s_xor_b32 s5, s14, s5
	ds_store_2addr_b32 v1, v2, v3 offset1:1
	s_mul_i32 s5, s5, 0x6c078965
	s_delay_alu instid0(SALU_CYCLE_1) | instskip(NEXT) | instid1(SALU_CYCLE_1)
	s_add_i32 s5, s3, s5
	s_add_i32 s5, s5, -2
	s_delay_alu instid0(SALU_CYCLE_1) | instskip(SKIP_3) | instid1(SALU_CYCLE_1)
	s_lshr_b32 s14, s5, 30
	v_mov_b32_e32 v2, s5
	ds_store_2addr_b32 v1, v4, v5 offset0:2 offset1:3
	s_xor_b32 s5, s14, s5
	s_mul_i32 s5, s5, 0x6c078965
	s_delay_alu instid0(SALU_CYCLE_1) | instskip(NEXT) | instid1(SALU_CYCLE_1)
	s_add_i32 s5, s3, s5
	s_add_i32 s5, s5, -1
	s_delay_alu instid0(SALU_CYCLE_1) | instskip(SKIP_2) | instid1(SALU_CYCLE_1)
	s_lshr_b32 s14, s5, 30
	v_mov_b32_e32 v3, s5
	s_xor_b32 s5, s14, s5
	s_mul_i32 s5, s5, 0x6c078965
	s_delay_alu instid0(SALU_CYCLE_1)
	s_add_i32 s14, s2, s5
	s_add_i32 s5, s3, s5
	;; [unrolled: 1-line block ×3, first 2 shown]
	v_mov_b32_e32 v4, s5
	s_add_i32 s2, s2, 7
	s_add_i32 s5, s14, 6
	s_cmpk_lg_i32 s3, 0x276
	ds_store_2addr_b32 v1, v2, v3 offset0:4 offset1:5
	ds_store_b32 v1, v4 offset:24
	s_cbranch_scc1 .LBB0_7
.LBB0_8:
	s_or_b32 exec_lo, exec_lo, s1
	v_lshlrev_b32_e32 v5, 2, v0
	s_cmp_lt_i32 s13, 1
	s_waitcnt lgkmcnt(0)
	s_waitcnt_vscnt null, 0x0
	s_barrier
	buffer_gl0_inv
	s_cbranch_scc1 .LBB0_69
; %bb.9:
	s_lshl_b32 s14, s12, 1
	v_cmp_gt_u32_e32 vcc_lo, 0xe3, v0
	s_mul_i32 s21, s14, s12
	v_dual_mov_b32 v7, 0 :: v_dual_add_nc_u32 v6, 0x718, v5
	s_ashr_i32 s2, s21, 2
	v_cvt_f32_u32_e32 v1, s21
	s_ashr_i32 s3, s2, 31
	v_add_nc_u32_e64 v10, 0x600, 0
	s_lshl_b64 s[2:3], s[2:3], 2
	s_mov_b32 s25, 0
	s_add_u32 s22, s15, s2
	s_addc_u32 s23, s16, s3
	s_abs_i32 s24, s12
	v_rcp_iflag_f32_e32 v1, v1
	v_cvt_f32_u32_e32 v2, s24
	s_sub_i32 s1, 0, s21
	s_sub_i32 s2, 0, s24
	s_add_i32 s26, s12, -1
	v_cmp_gt_u32_e64 s3, 0x70, v0
	v_rcp_iflag_f32_e32 v2, v2
	s_add_i32 s27, s26, s12
	s_ashr_i32 s28, s12, 31
	s_add_u32 s29, s22, -4
	s_waitcnt_depctr 0xfff
	v_mul_f32_e32 v1, 0x4f7ffffe, v1
	s_addc_u32 s30, s23, -1
	v_mul_f32_e32 v2, 0x4f7ffffe, v2
	s_delay_alu instid0(VALU_DEP_2) | instskip(NEXT) | instid1(VALU_DEP_2)
	v_cvt_u32_f32_e32 v1, v1
	v_cvt_u32_f32_e32 v2, v2
	s_delay_alu instid0(VALU_DEP_2) | instskip(SKIP_1) | instid1(VALU_DEP_3)
	v_mul_lo_u32 v3, s1, v1
	v_cmp_gt_u32_e64 s1, 0xa9, v0
	v_mul_lo_u32 v4, s2, v2
	v_cmp_gt_u32_e64 s2, 0x100, v0
	s_delay_alu instid0(VALU_DEP_4) | instskip(NEXT) | instid1(VALU_DEP_3)
	v_mul_hi_u32 v3, v1, v3
	v_mul_hi_u32 v4, v2, v4
	s_delay_alu instid0(VALU_DEP_2) | instskip(NEXT) | instid1(VALU_DEP_2)
	v_add_nc_u32_e32 v8, v1, v3
	v_add_nc_u32_e32 v9, v2, v4
	s_branch .LBB0_11
.LBB0_10:                               ;   in Loop: Header=BB0_11 Depth=1
	s_or_b32 exec_lo, exec_lo, s31
	s_addk_i32 s25, 0x138
	s_waitcnt_vscnt null, 0x0
	s_cmp_lt_i32 s25, s13
	s_barrier
	buffer_gl0_inv
	s_cbranch_scc0 .LBB0_69
.LBB0_11:                               ; =>This Inner Loop Header: Depth=1
                                        ; implicit-def: $vgpr1
	s_and_saveexec_b32 s4, vcc_lo
	s_cbranch_execz .LBB0_13
; %bb.12:                               ;   in Loop: Header=BB0_11 Depth=1
	ds_load_2addr_b32 v[1:2], v5 offset1:1
	ds_load_b32 v3, v5 offset:1588
	s_waitcnt lgkmcnt(1)
	v_and_b32_e32 v1, 0x80000000, v1
	s_delay_alu instid0(VALU_DEP_1) | instskip(SKIP_1) | instid1(VALU_DEP_2)
	v_and_or_b32 v1, 0x7ffffffe, v2, v1
	v_bfe_i32 v2, v2, 0, 1
	v_lshrrev_b32_e32 v1, 1, v1
	s_delay_alu instid0(VALU_DEP_2) | instskip(SKIP_1) | instid1(VALU_DEP_1)
	v_and_b32_e32 v2, 0x9908b0df, v2
	s_waitcnt lgkmcnt(0)
	v_xor3_b32 v1, v1, v3, v2
.LBB0_13:                               ;   in Loop: Header=BB0_11 Depth=1
	s_or_b32 exec_lo, exec_lo, s4
	s_barrier
	buffer_gl0_inv
	s_and_saveexec_b32 s4, vcc_lo
	s_cbranch_execz .LBB0_15
; %bb.14:                               ;   in Loop: Header=BB0_11 Depth=1
	ds_store_b32 v5, v1
.LBB0_15:                               ;   in Loop: Header=BB0_11 Depth=1
	s_or_b32 exec_lo, exec_lo, s4
	s_waitcnt lgkmcnt(0)
	s_barrier
	buffer_gl0_inv
	s_and_saveexec_b32 s4, vcc_lo
	s_cbranch_execz .LBB0_17
; %bb.16:                               ;   in Loop: Header=BB0_11 Depth=1
	ds_load_2addr_b32 v[1:2], v5 offset0:227 offset1:228
	ds_load_b32 v3, v5
	s_waitcnt lgkmcnt(1)
	v_and_b32_e32 v1, 0x80000000, v1
	s_delay_alu instid0(VALU_DEP_1) | instskip(SKIP_1) | instid1(VALU_DEP_2)
	v_and_or_b32 v1, 0x7ffffffe, v2, v1
	v_bfe_i32 v2, v2, 0, 1
	v_lshrrev_b32_e32 v1, 1, v1
	s_delay_alu instid0(VALU_DEP_2) | instskip(SKIP_1) | instid1(VALU_DEP_1)
	v_and_b32_e32 v2, 0x9908b0df, v2
	s_waitcnt lgkmcnt(0)
	v_xor3_b32 v1, v1, v3, v2
.LBB0_17:                               ;   in Loop: Header=BB0_11 Depth=1
	s_or_b32 exec_lo, exec_lo, s4
	s_barrier
	buffer_gl0_inv
	s_and_saveexec_b32 s4, vcc_lo
	s_cbranch_execz .LBB0_19
; %bb.18:                               ;   in Loop: Header=BB0_11 Depth=1
	ds_store_b32 v5, v1 offset:908
.LBB0_19:                               ;   in Loop: Header=BB0_11 Depth=1
	s_or_b32 exec_lo, exec_lo, s4
	s_waitcnt lgkmcnt(0)
	s_barrier
	buffer_gl0_inv
	s_and_saveexec_b32 s4, s1
	s_cbranch_execz .LBB0_21
; %bb.20:                               ;   in Loop: Header=BB0_11 Depth=1
	ds_load_2addr_b32 v[1:2], v6 offset1:1
	ds_load_b32 v3, v5 offset:908
	s_waitcnt lgkmcnt(1)
	v_and_b32_e32 v1, 0x80000000, v1
	s_delay_alu instid0(VALU_DEP_1) | instskip(SKIP_1) | instid1(VALU_DEP_2)
	v_and_or_b32 v1, 0x7ffffffe, v2, v1
	v_bfe_i32 v2, v2, 0, 1
	v_lshrrev_b32_e32 v1, 1, v1
	s_delay_alu instid0(VALU_DEP_2) | instskip(SKIP_1) | instid1(VALU_DEP_1)
	v_and_b32_e32 v2, 0x9908b0df, v2
	s_waitcnt lgkmcnt(0)
	v_xor3_b32 v1, v1, v3, v2
.LBB0_21:                               ;   in Loop: Header=BB0_11 Depth=1
	s_or_b32 exec_lo, exec_lo, s4
	s_barrier
	buffer_gl0_inv
	s_and_saveexec_b32 s4, s1
	s_cbranch_execz .LBB0_23
; %bb.22:                               ;   in Loop: Header=BB0_11 Depth=1
	ds_store_b32 v5, v1 offset:1816
.LBB0_23:                               ;   in Loop: Header=BB0_11 Depth=1
	s_or_b32 exec_lo, exec_lo, s4
	s_waitcnt lgkmcnt(0)
	s_barrier
	buffer_gl0_inv
	s_and_saveexec_b32 s4, s0
	s_cbranch_execz .LBB0_25
; %bb.24:                               ;   in Loop: Header=BB0_11 Depth=1
	ds_load_2addr_b32 v[1:2], v10 offset0:12 offset1:239
	ds_load_b32 v3, v7
	s_waitcnt lgkmcnt(1)
	v_and_b32_e32 v2, 0x80000000, v2
	s_waitcnt lgkmcnt(0)
	v_and_b32_e32 v4, 0x7ffffffe, v3
	v_bfe_i32 v3, v3, 0, 1
	s_delay_alu instid0(VALU_DEP_2) | instskip(NEXT) | instid1(VALU_DEP_1)
	v_or_b32_e32 v2, v4, v2
	v_lshrrev_b32_e32 v2, 1, v2
	s_delay_alu instid0(VALU_DEP_1) | instskip(NEXT) | instid1(VALU_DEP_4)
	v_xor_b32_e32 v1, v2, v1
	v_and_b32_e32 v2, 0x9908b0df, v3
	s_delay_alu instid0(VALU_DEP_1)
	v_xor_b32_e32 v1, v1, v2
	ds_store_b32 v7, v1 offset:2492
.LBB0_25:                               ;   in Loop: Header=BB0_11 Depth=1
	s_or_b32 exec_lo, exec_lo, s4
	s_waitcnt lgkmcnt(0)
	s_barrier
	buffer_gl0_inv
	ds_load_b32 v1, v5
	s_add_i32 s31, s25, 7
	s_mov_b32 s33, -1
                                        ; implicit-def: $vgpr14
                                        ; implicit-def: $vgpr15
                                        ; implicit-def: $vgpr13
	s_waitcnt lgkmcnt(0)
	v_mul_hi_u32 v2, v1, v8
	s_delay_alu instid0(VALU_DEP_1) | instskip(NEXT) | instid1(VALU_DEP_1)
	v_mul_lo_u32 v2, v2, s21
	v_sub_nc_u32_e32 v1, v1, v2
	s_delay_alu instid0(VALU_DEP_1) | instskip(SKIP_1) | instid1(VALU_DEP_1)
	v_subrev_nc_u32_e32 v2, s21, v1
	v_cmp_le_u32_e64 s4, s21, v1
	v_cndmask_b32_e64 v1, v1, v2, s4
	s_delay_alu instid0(VALU_DEP_1) | instskip(SKIP_1) | instid1(VALU_DEP_1)
	v_subrev_nc_u32_e32 v2, s21, v1
	v_cmp_le_u32_e64 s4, s21, v1
	v_cndmask_b32_e64 v1, v1, v2, s4
	s_delay_alu instid0(VALU_DEP_1) | instskip(NEXT) | instid1(VALU_DEP_1)
	v_sub_nc_u32_e32 v2, 0, v1
	v_max_i32_e32 v2, v1, v2
	s_delay_alu instid0(VALU_DEP_1) | instskip(NEXT) | instid1(VALU_DEP_1)
	v_mul_hi_u32 v3, v2, v9
	v_mul_lo_u32 v4, v3, s24
	s_delay_alu instid0(VALU_DEP_1) | instskip(SKIP_1) | instid1(VALU_DEP_2)
	v_sub_nc_u32_e32 v4, v2, v4
	v_add_nc_u32_e32 v2, 1, v3
	v_subrev_nc_u32_e32 v11, s24, v4
	v_cmp_le_u32_e64 s4, s24, v4
	s_delay_alu instid0(VALU_DEP_1) | instskip(NEXT) | instid1(VALU_DEP_3)
	v_cndmask_b32_e64 v3, v3, v2, s4
	v_cndmask_b32_e64 v4, v4, v11, s4
	v_ashrrev_i32_e32 v2, 31, v1
	s_delay_alu instid0(VALU_DEP_3) | instskip(NEXT) | instid1(VALU_DEP_3)
	v_add_nc_u32_e32 v11, 1, v3
	v_cmp_le_u32_e64 s4, s24, v4
	s_delay_alu instid0(VALU_DEP_3) | instskip(NEXT) | instid1(VALU_DEP_2)
	v_xor_b32_e32 v12, s28, v2
	v_cndmask_b32_e64 v3, v3, v11, s4
	s_mov_b32 s4, -1
	s_delay_alu instid0(VALU_DEP_1) | instskip(NEXT) | instid1(VALU_DEP_1)
	v_xor_b32_e32 v3, v3, v12
	v_sub_nc_u32_e32 v16, v3, v12
                                        ; implicit-def: $vgpr12
                                        ; implicit-def: $vgpr3
	s_delay_alu instid0(VALU_DEP_1) | instskip(NEXT) | instid1(VALU_DEP_1)
	v_mul_lo_u32 v4, v16, s12
	v_sub_nc_u32_e32 v11, v1, v4
	s_and_saveexec_b32 s34, s2
	s_cbranch_execz .LBB0_29
; %bb.26:                               ;   in Loop: Header=BB0_11 Depth=1
	v_cmp_eq_u32_e64 s4, 0, v16
	s_delay_alu instid0(VALU_DEP_2)
	v_add_nc_u32_e32 v3, 1, v11
	v_and_b32_e32 v13, 1, v16
	s_mov_b32 s36, -1
	s_mov_b32 s35, exec_lo
	v_cndmask_b32_e64 v12, v16, s14, s4
	v_cmp_ne_u32_e64 s4, s26, v11
	s_delay_alu instid0(VALU_DEP_2) | instskip(NEXT) | instid1(VALU_DEP_2)
	v_add_nc_u32_e32 v12, -1, v12
	v_cndmask_b32_e64 v3, 0, v3, s4
	v_cmp_eq_u32_e64 s4, 0, v13
	s_delay_alu instid0(VALU_DEP_1) | instskip(NEXT) | instid1(VALU_DEP_1)
	v_cndmask_b32_e64 v3, v3, v11, s4
	v_mad_u64_u32 v[13:14], null, v12, s12, v[3:4]
	v_add_co_u32 v14, s4, s15, v1
	s_delay_alu instid0(VALU_DEP_1) | instskip(NEXT) | instid1(VALU_DEP_3)
	v_add_co_ci_u32_e64 v15, s4, s16, v2, s4
	v_ashrrev_i32_e32 v18, 31, v13
	v_add_co_u32 v17, s4, s15, v13
	s_delay_alu instid0(VALU_DEP_1)
	v_add_co_ci_u32_e64 v18, s4, s16, v18, s4
	s_clause 0x1
	global_load_u8 v13, v[14:15], off
	global_load_i8 v15, v[17:18], off
	v_cmp_ne_u32_e64 s4, s27, v16
	s_waitcnt vmcnt(1)
	v_bfe_i32 v13, v13, 0, 8
	s_waitcnt vmcnt(0)
	s_delay_alu instid0(VALU_DEP_1) | instskip(NEXT) | instid1(VALU_DEP_1)
	v_min_i16 v14, v15, v13
	v_cmpx_lt_i16_e32 0, v14
	s_cbranch_execz .LBB0_28
; %bb.27:                               ;   in Loop: Header=BB0_11 Depth=1
	v_lshlrev_b64 v[17:18], 2, v[1:2]
	v_mov_b32_e32 v14, s31
	s_xor_b32 s36, exec_lo, -1
	s_delay_alu instid0(VALU_DEP_2) | instskip(NEXT) | instid1(VALU_DEP_1)
	v_add_co_u32 v17, s5, s22, v17
	v_add_co_ci_u32_e64 v18, s5, s23, v18, s5
	global_store_b32 v[17:18], v14, off
.LBB0_28:                               ;   in Loop: Header=BB0_11 Depth=1
	s_or_b32 exec_lo, exec_lo, s35
	v_add_nc_u32_e32 v14, 1, v16
	s_delay_alu instid0(VALU_DEP_1)
	v_cndmask_b32_e64 v14, 0, v14, s4
	s_or_not1_b32 s4, s36, exec_lo
.LBB0_29:                               ;   in Loop: Header=BB0_11 Depth=1
	s_or_b32 exec_lo, exec_lo, s34
	s_xor_b32 s4, s4, -1
	s_waitcnt_vscnt null, 0x0
	s_barrier
	buffer_gl0_inv
	s_and_saveexec_b32 s5, s4
	s_cbranch_execz .LBB0_35
; %bb.30:                               ;   in Loop: Header=BB0_11 Depth=1
	v_and_b32_e32 v16, 1, v16
	s_mov_b32 s34, 0
	s_mov_b32 s33, exec_lo
	s_delay_alu instid0(VALU_DEP_1)
	v_cmpx_eq_u32_e32 0, v16
	s_cbranch_execz .LBB0_34
; %bb.31:                               ;   in Loop: Header=BB0_11 Depth=1
	v_mad_u64_u32 v[16:17], null, v12, s12, v[3:4]
	s_mov_b32 s35, -1
	s_mov_b32 s34, exec_lo
	s_delay_alu instid0(VALU_DEP_1) | instskip(NEXT) | instid1(VALU_DEP_1)
	v_ashrrev_i32_e32 v17, 31, v16
	v_lshlrev_b64 v[16:17], 2, v[16:17]
	s_delay_alu instid0(VALU_DEP_1) | instskip(NEXT) | instid1(VALU_DEP_1)
	v_add_co_u32 v16, s4, s22, v16
	v_add_co_ci_u32_e64 v17, s4, s23, v17, s4
	global_load_b32 v16, v[16:17], off
	s_waitcnt vmcnt(0)
	v_cmpx_ne_u32_e64 s31, v16
	s_cbranch_execz .LBB0_33
; %bb.32:                               ;   in Loop: Header=BB0_11 Depth=1
	v_cmp_eq_u32_e64 s4, 0, v3
	v_mul_lo_u32 v16, v14, s12
	s_delay_alu instid0(VALU_DEP_2) | instskip(NEXT) | instid1(VALU_DEP_2)
	v_cndmask_b32_e64 v17, v3, s12, s4
	v_ashrrev_i32_e32 v19, 31, v16
	s_delay_alu instid0(VALU_DEP_2) | instskip(SKIP_1) | instid1(VALU_DEP_1)
	v_ashrrev_i32_e32 v18, 31, v17
	v_add_co_u32 v16, s4, v17, v16
	v_add_co_ci_u32_e64 v17, s4, v18, v19, s4
	s_delay_alu instid0(VALU_DEP_1) | instskip(NEXT) | instid1(VALU_DEP_1)
	v_lshlrev_b64 v[16:17], 2, v[16:17]
	v_add_co_u32 v16, s4, s29, v16
	s_delay_alu instid0(VALU_DEP_1) | instskip(SKIP_3) | instid1(VALU_DEP_1)
	v_add_co_ci_u32_e64 v17, s4, s30, v17, s4
	global_load_b32 v16, v[16:17], off
	s_waitcnt vmcnt(0)
	v_cmp_eq_u32_e64 s4, s31, v16
	s_or_not1_b32 s35, s4, exec_lo
.LBB0_33:                               ;   in Loop: Header=BB0_11 Depth=1
	s_or_b32 exec_lo, exec_lo, s34
	s_delay_alu instid0(SALU_CYCLE_1)
	s_and_b32 s34, s35, exec_lo
.LBB0_34:                               ;   in Loop: Header=BB0_11 Depth=1
	s_or_b32 exec_lo, exec_lo, s33
	s_delay_alu instid0(SALU_CYCLE_1)
	s_or_not1_b32 s33, s34, exec_lo
.LBB0_35:                               ;   in Loop: Header=BB0_11 Depth=1
	s_or_b32 exec_lo, exec_lo, s5
	s_xor_b32 s5, s33, -1
	s_delay_alu instid0(SALU_CYCLE_1)
	s_and_saveexec_b32 s31, s5
; %bb.36:                               ;   in Loop: Header=BB0_11 Depth=1
	v_mad_u64_u32 v[16:17], null, v12, s12, v[3:4]
	v_add_nc_u16 v18, v13, -1
	v_add_nc_u16 v15, v15, -1
	s_delay_alu instid0(VALU_DEP_3) | instskip(SKIP_1) | instid1(VALU_DEP_1)
	v_ashrrev_i32_e32 v17, 31, v16
	v_add_co_u32 v12, s4, s15, v16
	v_add_co_ci_u32_e64 v13, s4, s16, v17, s4
	v_add_co_u32 v1, s4, s15, v1
	s_delay_alu instid0(VALU_DEP_1)
	v_add_co_ci_u32_e64 v2, s4, s16, v2, s4
	s_clause 0x1
	global_store_b8 v[12:13], v15, off
	global_store_b8 v[1:2], v18, off
; %bb.37:                               ;   in Loop: Header=BB0_11 Depth=1
	s_or_b32 exec_lo, exec_lo, s31
	s_waitcnt_vscnt null, 0x0
	s_barrier
	buffer_gl0_inv
	s_and_saveexec_b32 s31, s5
	s_cbranch_execz .LBB0_39
; %bb.38:                               ;   in Loop: Header=BB0_11 Depth=1
	v_mad_u64_u32 v[1:2], null, v14, s12, v[3:4]
	v_add_nc_u32_e32 v12, 1, v11
	s_delay_alu instid0(VALU_DEP_2) | instskip(SKIP_1) | instid1(VALU_DEP_1)
	v_ashrrev_i32_e32 v2, 31, v1
	v_add_co_u32 v1, s4, s15, v1
	v_add_co_ci_u32_e64 v2, s4, s16, v2, s4
	v_cmp_ne_u32_e64 s4, s26, v11
	global_load_u8 v3, v[1:2], off
	v_cndmask_b32_e64 v11, 0, v12, s4
	s_delay_alu instid0(VALU_DEP_1) | instskip(NEXT) | instid1(VALU_DEP_1)
	v_add_nc_u32_e32 v4, v11, v4
	v_ashrrev_i32_e32 v11, 31, v4
	s_waitcnt vmcnt(0)
	v_add_nc_u16 v12, v3, 1
	v_add_co_u32 v3, s4, s15, v4
	s_delay_alu instid0(VALU_DEP_1)
	v_add_co_ci_u32_e64 v4, s4, s16, v11, s4
	global_store_b8 v[1:2], v12, off
	global_load_u8 v1, v[3:4], off
	s_waitcnt vmcnt(0)
	v_add_nc_u16 v1, v1, 1
	global_store_b8 v[3:4], v1, off
.LBB0_39:                               ;   in Loop: Header=BB0_11 Depth=1
	s_or_b32 exec_lo, exec_lo, s31
	s_waitcnt_vscnt null, 0x0
	s_barrier
	buffer_gl0_inv
	ds_load_b32 v1, v5 offset:1024
	s_add_i32 s31, s25, 11
	s_mov_b32 s33, -1
                                        ; implicit-def: $vgpr13
                                        ; implicit-def: $vgpr15
                                        ; implicit-def: $vgpr16
                                        ; implicit-def: $vgpr14
	s_waitcnt lgkmcnt(0)
	v_mul_hi_u32 v2, v1, v8
	s_delay_alu instid0(VALU_DEP_1) | instskip(NEXT) | instid1(VALU_DEP_1)
	v_mul_lo_u32 v2, v2, s21
	v_sub_nc_u32_e32 v1, v1, v2
	s_delay_alu instid0(VALU_DEP_1) | instskip(SKIP_1) | instid1(VALU_DEP_1)
	v_subrev_nc_u32_e32 v2, s21, v1
	v_cmp_le_u32_e64 s4, s21, v1
	v_cndmask_b32_e64 v1, v1, v2, s4
	s_delay_alu instid0(VALU_DEP_1) | instskip(SKIP_1) | instid1(VALU_DEP_1)
	v_subrev_nc_u32_e32 v2, s21, v1
	v_cmp_le_u32_e64 s4, s21, v1
	v_cndmask_b32_e64 v2, v1, v2, s4
	s_delay_alu instid0(VALU_DEP_1) | instskip(NEXT) | instid1(VALU_DEP_1)
	v_sub_nc_u32_e32 v1, 0, v2
	v_max_i32_e32 v1, v2, v1
	s_delay_alu instid0(VALU_DEP_1) | instskip(NEXT) | instid1(VALU_DEP_1)
	v_mul_hi_u32 v3, v1, v9
	v_mul_lo_u32 v4, v3, s24
	s_delay_alu instid0(VALU_DEP_1) | instskip(SKIP_1) | instid1(VALU_DEP_2)
	v_sub_nc_u32_e32 v1, v1, v4
	v_add_nc_u32_e32 v4, 1, v3
	v_subrev_nc_u32_e32 v11, s24, v1
	v_cmp_le_u32_e64 s4, s24, v1
	s_delay_alu instid0(VALU_DEP_1) | instskip(NEXT) | instid1(VALU_DEP_3)
	v_cndmask_b32_e64 v4, v3, v4, s4
	v_cndmask_b32_e64 v1, v1, v11, s4
	v_ashrrev_i32_e32 v3, 31, v2
	s_delay_alu instid0(VALU_DEP_3) | instskip(NEXT) | instid1(VALU_DEP_3)
	v_add_nc_u32_e32 v11, 1, v4
	v_cmp_le_u32_e64 s4, s24, v1
	s_delay_alu instid0(VALU_DEP_3) | instskip(NEXT) | instid1(VALU_DEP_2)
	v_xor_b32_e32 v12, s28, v3
	v_cndmask_b32_e64 v1, v4, v11, s4
	s_mov_b32 s4, -1
                                        ; implicit-def: $vgpr4
	s_delay_alu instid0(VALU_DEP_1) | instskip(NEXT) | instid1(VALU_DEP_1)
	v_xor_b32_e32 v1, v1, v12
	v_sub_nc_u32_e32 v11, v1, v12
	s_delay_alu instid0(VALU_DEP_1) | instskip(NEXT) | instid1(VALU_DEP_1)
	v_mul_lo_u32 v12, v11, s12
	v_sub_nc_u32_e32 v1, v2, v12
	s_and_saveexec_b32 s34, s2
	s_cbranch_execz .LBB0_43
; %bb.40:                               ;   in Loop: Header=BB0_11 Depth=1
	v_cmp_eq_u32_e64 s4, 0, v11
	s_delay_alu instid0(VALU_DEP_2)
	v_add_nc_u32_e32 v4, 1, v1
	v_and_b32_e32 v14, 1, v11
	s_mov_b32 s36, -1
	s_mov_b32 s35, exec_lo
	v_cndmask_b32_e64 v13, v11, s14, s4
	v_cmp_ne_u32_e64 s4, s26, v1
	s_delay_alu instid0(VALU_DEP_2) | instskip(NEXT) | instid1(VALU_DEP_2)
	v_add_nc_u32_e32 v13, -1, v13
	v_cndmask_b32_e64 v4, 0, v4, s4
	v_cmp_eq_u32_e64 s4, 0, v14
	s_delay_alu instid0(VALU_DEP_1) | instskip(NEXT) | instid1(VALU_DEP_1)
	v_cndmask_b32_e64 v4, v4, v1, s4
	v_mad_u64_u32 v[14:15], null, v13, s12, v[4:5]
	v_add_co_u32 v15, s4, s15, v2
	s_delay_alu instid0(VALU_DEP_1) | instskip(NEXT) | instid1(VALU_DEP_3)
	v_add_co_ci_u32_e64 v16, s4, s16, v3, s4
	v_ashrrev_i32_e32 v18, 31, v14
	v_add_co_u32 v17, s4, s15, v14
	s_delay_alu instid0(VALU_DEP_1)
	v_add_co_ci_u32_e64 v18, s4, s16, v18, s4
	s_clause 0x1
	global_load_u8 v14, v[15:16], off
	global_load_i8 v16, v[17:18], off
	v_cmp_ne_u32_e64 s4, s27, v11
	s_waitcnt vmcnt(1)
	v_bfe_i32 v14, v14, 0, 8
	s_waitcnt vmcnt(0)
	s_delay_alu instid0(VALU_DEP_1) | instskip(NEXT) | instid1(VALU_DEP_1)
	v_min_i16 v15, v16, v14
	v_cmpx_lt_i16_e32 0, v15
	s_cbranch_execz .LBB0_42
; %bb.41:                               ;   in Loop: Header=BB0_11 Depth=1
	v_lshlrev_b64 v[17:18], 2, v[2:3]
	v_mov_b32_e32 v15, s31
	s_xor_b32 s36, exec_lo, -1
	s_delay_alu instid0(VALU_DEP_2) | instskip(NEXT) | instid1(VALU_DEP_1)
	v_add_co_u32 v17, s5, s22, v17
	v_add_co_ci_u32_e64 v18, s5, s23, v18, s5
	global_store_b32 v[17:18], v15, off
.LBB0_42:                               ;   in Loop: Header=BB0_11 Depth=1
	s_or_b32 exec_lo, exec_lo, s35
	v_add_nc_u32_e32 v15, 1, v11
	s_delay_alu instid0(VALU_DEP_1)
	v_cndmask_b32_e64 v15, 0, v15, s4
	s_or_not1_b32 s4, s36, exec_lo
.LBB0_43:                               ;   in Loop: Header=BB0_11 Depth=1
	s_or_b32 exec_lo, exec_lo, s34
	s_xor_b32 s4, s4, -1
	s_waitcnt_vscnt null, 0x0
	s_barrier
	buffer_gl0_inv
	s_and_saveexec_b32 s5, s4
	s_cbranch_execz .LBB0_49
; %bb.44:                               ;   in Loop: Header=BB0_11 Depth=1
	v_and_b32_e32 v17, 1, v11
	s_mov_b32 s34, 0
	s_mov_b32 s33, exec_lo
	s_delay_alu instid0(VALU_DEP_1)
	v_cmpx_eq_u32_e32 0, v17
	s_cbranch_execz .LBB0_48
; %bb.45:                               ;   in Loop: Header=BB0_11 Depth=1
	v_mad_u64_u32 v[17:18], null, v13, s12, v[4:5]
	s_mov_b32 s35, -1
	s_mov_b32 s34, exec_lo
	s_delay_alu instid0(VALU_DEP_1) | instskip(NEXT) | instid1(VALU_DEP_1)
	v_ashrrev_i32_e32 v18, 31, v17
	v_lshlrev_b64 v[17:18], 2, v[17:18]
	s_delay_alu instid0(VALU_DEP_1) | instskip(NEXT) | instid1(VALU_DEP_1)
	v_add_co_u32 v17, s4, s22, v17
	v_add_co_ci_u32_e64 v18, s4, s23, v18, s4
	global_load_b32 v17, v[17:18], off
	s_waitcnt vmcnt(0)
	v_cmpx_ne_u32_e64 s31, v17
	s_cbranch_execz .LBB0_47
; %bb.46:                               ;   in Loop: Header=BB0_11 Depth=1
	v_cmp_eq_u32_e64 s4, 0, v4
	v_mul_lo_u32 v17, v15, s12
	s_delay_alu instid0(VALU_DEP_2) | instskip(NEXT) | instid1(VALU_DEP_2)
	v_cndmask_b32_e64 v18, v4, s12, s4
	v_ashrrev_i32_e32 v20, 31, v17
	s_delay_alu instid0(VALU_DEP_2) | instskip(SKIP_1) | instid1(VALU_DEP_1)
	v_ashrrev_i32_e32 v19, 31, v18
	v_add_co_u32 v17, s4, v18, v17
	v_add_co_ci_u32_e64 v18, s4, v19, v20, s4
	s_delay_alu instid0(VALU_DEP_1) | instskip(NEXT) | instid1(VALU_DEP_1)
	v_lshlrev_b64 v[17:18], 2, v[17:18]
	v_add_co_u32 v17, s4, s29, v17
	s_delay_alu instid0(VALU_DEP_1) | instskip(SKIP_3) | instid1(VALU_DEP_1)
	v_add_co_ci_u32_e64 v18, s4, s30, v18, s4
	global_load_b32 v17, v[17:18], off
	s_waitcnt vmcnt(0)
	v_cmp_eq_u32_e64 s4, s31, v17
	s_or_not1_b32 s35, s4, exec_lo
.LBB0_47:                               ;   in Loop: Header=BB0_11 Depth=1
	s_or_b32 exec_lo, exec_lo, s34
	s_delay_alu instid0(SALU_CYCLE_1)
	s_and_b32 s34, s35, exec_lo
.LBB0_48:                               ;   in Loop: Header=BB0_11 Depth=1
	s_or_b32 exec_lo, exec_lo, s33
	s_delay_alu instid0(SALU_CYCLE_1)
	s_or_not1_b32 s33, s34, exec_lo
.LBB0_49:                               ;   in Loop: Header=BB0_11 Depth=1
	s_or_b32 exec_lo, exec_lo, s5
	s_xor_b32 s5, s33, -1
	s_delay_alu instid0(SALU_CYCLE_1)
	s_and_saveexec_b32 s31, s5
; %bb.50:                               ;   in Loop: Header=BB0_11 Depth=1
	v_mad_u64_u32 v[17:18], null, v13, s12, v[4:5]
	v_add_nc_u16 v19, v14, -1
	v_add_nc_u16 v16, v16, -1
	s_delay_alu instid0(VALU_DEP_3) | instskip(SKIP_1) | instid1(VALU_DEP_1)
	v_ashrrev_i32_e32 v18, 31, v17
	v_add_co_u32 v13, s4, s15, v17
	v_add_co_ci_u32_e64 v14, s4, s16, v18, s4
	v_add_co_u32 v2, s4, s15, v2
	s_delay_alu instid0(VALU_DEP_1)
	v_add_co_ci_u32_e64 v3, s4, s16, v3, s4
	s_clause 0x1
	global_store_b8 v[13:14], v16, off
	global_store_b8 v[2:3], v19, off
; %bb.51:                               ;   in Loop: Header=BB0_11 Depth=1
	s_or_b32 exec_lo, exec_lo, s31
	s_waitcnt_vscnt null, 0x0
	s_barrier
	buffer_gl0_inv
	s_and_saveexec_b32 s31, s5
	s_cbranch_execz .LBB0_53
; %bb.52:                               ;   in Loop: Header=BB0_11 Depth=1
	v_mad_u64_u32 v[2:3], null, v15, s12, v[4:5]
	v_add_nc_u32_e32 v13, 1, v1
	s_delay_alu instid0(VALU_DEP_2) | instskip(SKIP_1) | instid1(VALU_DEP_1)
	v_ashrrev_i32_e32 v3, 31, v2
	v_add_co_u32 v2, s4, s15, v2
	v_add_co_ci_u32_e64 v3, s4, s16, v3, s4
	v_cmp_ne_u32_e64 s4, s26, v1
	global_load_u8 v4, v[2:3], off
	v_cndmask_b32_e64 v13, 0, v13, s4
	s_delay_alu instid0(VALU_DEP_1) | instskip(NEXT) | instid1(VALU_DEP_1)
	v_add_nc_u32_e32 v12, v13, v12
	v_ashrrev_i32_e32 v13, 31, v12
	v_add_co_u32 v12, s4, s15, v12
	s_delay_alu instid0(VALU_DEP_1)
	v_add_co_ci_u32_e64 v13, s4, s16, v13, s4
	s_waitcnt vmcnt(0)
	v_add_nc_u16 v4, v4, 1
	global_store_b8 v[2:3], v4, off
	global_load_u8 v2, v[12:13], off
	s_waitcnt vmcnt(0)
	v_add_nc_u16 v2, v2, 1
	global_store_b8 v[12:13], v2, off
.LBB0_53:                               ;   in Loop: Header=BB0_11 Depth=1
	s_or_b32 exec_lo, exec_lo, s31
	s_waitcnt_vscnt null, 0x0
	s_barrier
	buffer_gl0_inv
	s_and_saveexec_b32 s5, s3
	s_cbranch_execz .LBB0_55
; %bb.54:                               ;   in Loop: Header=BB0_11 Depth=1
	ds_load_b32 v1, v5 offset:2048
	s_waitcnt lgkmcnt(0)
	v_mul_hi_u32 v2, v1, v8
	s_delay_alu instid0(VALU_DEP_1) | instskip(NEXT) | instid1(VALU_DEP_1)
	v_mul_lo_u32 v2, v2, s21
	v_sub_nc_u32_e32 v1, v1, v2
	s_delay_alu instid0(VALU_DEP_1) | instskip(SKIP_1) | instid1(VALU_DEP_1)
	v_subrev_nc_u32_e32 v2, s21, v1
	v_cmp_le_u32_e64 s4, s21, v1
	v_cndmask_b32_e64 v1, v1, v2, s4
	s_delay_alu instid0(VALU_DEP_1) | instskip(SKIP_1) | instid1(VALU_DEP_1)
	v_subrev_nc_u32_e32 v2, s21, v1
	v_cmp_le_u32_e64 s4, s21, v1
	v_cndmask_b32_e64 v1, v1, v2, s4
	s_delay_alu instid0(VALU_DEP_1) | instskip(NEXT) | instid1(VALU_DEP_1)
	v_sub_nc_u32_e32 v2, 0, v1
	v_max_i32_e32 v2, v1, v2
	s_delay_alu instid0(VALU_DEP_1) | instskip(NEXT) | instid1(VALU_DEP_1)
	v_mul_hi_u32 v3, v2, v9
	v_mul_lo_u32 v4, v3, s24
	s_delay_alu instid0(VALU_DEP_1) | instskip(SKIP_1) | instid1(VALU_DEP_2)
	v_sub_nc_u32_e32 v2, v2, v4
	v_add_nc_u32_e32 v4, 1, v3
	v_subrev_nc_u32_e32 v11, s24, v2
	v_cmp_le_u32_e64 s4, s24, v2
	s_delay_alu instid0(VALU_DEP_1) | instskip(NEXT) | instid1(VALU_DEP_3)
	v_cndmask_b32_e64 v3, v3, v4, s4
	v_cndmask_b32_e64 v2, v2, v11, s4
	v_ashrrev_i32_e32 v4, 31, v1
	s_delay_alu instid0(VALU_DEP_3) | instskip(NEXT) | instid1(VALU_DEP_3)
	v_add_nc_u32_e32 v11, 1, v3
	v_cmp_le_u32_e64 s4, s24, v2
	s_delay_alu instid0(VALU_DEP_3) | instskip(NEXT) | instid1(VALU_DEP_2)
	v_xor_b32_e32 v4, s28, v4
	v_cndmask_b32_e64 v2, v3, v11, s4
	s_delay_alu instid0(VALU_DEP_1) | instskip(NEXT) | instid1(VALU_DEP_1)
	v_xor_b32_e32 v2, v2, v4
	v_sub_nc_u32_e32 v11, v2, v4
	s_delay_alu instid0(VALU_DEP_1) | instskip(NEXT) | instid1(VALU_DEP_1)
	v_mul_lo_u32 v2, v11, s12
	v_sub_nc_u32_e32 v1, v1, v2
.LBB0_55:                               ;   in Loop: Header=BB0_11 Depth=1
	s_or_b32 exec_lo, exec_lo, s5
	s_add_i32 s31, s25, 13
	s_mov_b32 s33, -1
	s_mov_b32 s4, -1
                                        ; implicit-def: $vgpr12
                                        ; implicit-def: $vgpr2
                                        ; implicit-def: $vgpr3
                                        ; implicit-def: $vgpr13
                                        ; implicit-def: $vgpr14
	s_and_saveexec_b32 s34, s3
	s_cbranch_execz .LBB0_59
; %bb.56:                               ;   in Loop: Header=BB0_11 Depth=1
	v_cmp_eq_u32_e64 s4, 0, v11
	v_add_nc_u32_e32 v2, 1, v1
	v_and_b32_e32 v4, 1, v11
	s_mov_b32 s36, -1
	s_mov_b32 s35, exec_lo
	v_cndmask_b32_e64 v3, v11, s14, s4
	v_cmp_ne_u32_e64 s4, s26, v1
	s_delay_alu instid0(VALU_DEP_2) | instskip(NEXT) | instid1(VALU_DEP_2)
	v_add_nc_u32_e32 v12, -1, v3
	v_cndmask_b32_e64 v2, 0, v2, s4
	v_cmp_eq_u32_e64 s4, 0, v4
	s_delay_alu instid0(VALU_DEP_1) | instskip(NEXT) | instid1(VALU_DEP_1)
	v_cndmask_b32_e64 v2, v2, v1, s4
	v_mad_u64_u32 v[3:4], null, v11, s12, v[1:2]
	s_delay_alu instid0(VALU_DEP_1) | instskip(SKIP_2) | instid1(VALU_DEP_1)
	v_mad_u64_u32 v[13:14], null, v12, s12, v[2:3]
	v_ashrrev_i32_e32 v4, 31, v3
	v_add_co_u32 v14, s4, s15, v3
	v_add_co_ci_u32_e64 v15, s4, s16, v4, s4
	s_delay_alu instid0(VALU_DEP_4) | instskip(SKIP_1) | instid1(VALU_DEP_1)
	v_ashrrev_i32_e32 v17, 31, v13
	v_add_co_u32 v16, s4, s15, v13
	v_add_co_ci_u32_e64 v17, s4, s16, v17, s4
	s_clause 0x1
	global_load_u8 v14, v[14:15], off
	global_load_i8 v13, v[16:17], off
	v_cmp_ne_u32_e64 s4, s27, v11
	s_waitcnt vmcnt(1)
	v_bfe_i32 v14, v14, 0, 8
	s_waitcnt vmcnt(0)
	s_delay_alu instid0(VALU_DEP_1) | instskip(NEXT) | instid1(VALU_DEP_1)
	v_min_i16 v15, v13, v14
	v_cmpx_lt_i16_e32 0, v15
	s_cbranch_execz .LBB0_58
; %bb.57:                               ;   in Loop: Header=BB0_11 Depth=1
	v_lshlrev_b64 v[3:4], 2, v[3:4]
	v_mov_b32_e32 v15, s31
	s_xor_b32 s36, exec_lo, -1
	s_delay_alu instid0(VALU_DEP_2) | instskip(NEXT) | instid1(VALU_DEP_1)
	v_add_co_u32 v3, s5, s22, v3
	v_add_co_ci_u32_e64 v4, s5, s23, v4, s5
	global_store_b32 v[3:4], v15, off
.LBB0_58:                               ;   in Loop: Header=BB0_11 Depth=1
	s_or_b32 exec_lo, exec_lo, s35
	v_add_nc_u32_e32 v3, 1, v11
	s_delay_alu instid0(VALU_DEP_1)
	v_cndmask_b32_e64 v3, 0, v3, s4
	s_or_not1_b32 s4, s36, exec_lo
.LBB0_59:                               ;   in Loop: Header=BB0_11 Depth=1
	s_or_b32 exec_lo, exec_lo, s34
	s_xor_b32 s4, s4, -1
	s_waitcnt_vscnt null, 0x0
	s_barrier
	buffer_gl0_inv
	s_and_saveexec_b32 s5, s4
	s_cbranch_execz .LBB0_65
; %bb.60:                               ;   in Loop: Header=BB0_11 Depth=1
	v_and_b32_e32 v4, 1, v11
	s_mov_b32 s34, 0
	s_mov_b32 s33, exec_lo
	s_delay_alu instid0(VALU_DEP_1)
	v_cmpx_eq_u32_e32 0, v4
	s_cbranch_execz .LBB0_64
; %bb.61:                               ;   in Loop: Header=BB0_11 Depth=1
	v_mad_u64_u32 v[15:16], null, v12, s12, v[2:3]
	s_mov_b32 s35, -1
	s_mov_b32 s34, exec_lo
	s_delay_alu instid0(VALU_DEP_1) | instskip(NEXT) | instid1(VALU_DEP_1)
	v_ashrrev_i32_e32 v16, 31, v15
	v_lshlrev_b64 v[15:16], 2, v[15:16]
	s_delay_alu instid0(VALU_DEP_1) | instskip(NEXT) | instid1(VALU_DEP_1)
	v_add_co_u32 v15, s4, s22, v15
	v_add_co_ci_u32_e64 v16, s4, s23, v16, s4
	global_load_b32 v4, v[15:16], off
	s_waitcnt vmcnt(0)
	v_cmpx_ne_u32_e64 s31, v4
	s_cbranch_execz .LBB0_63
; %bb.62:                               ;   in Loop: Header=BB0_11 Depth=1
	v_cmp_eq_u32_e64 s4, 0, v2
	v_mul_lo_u32 v4, v3, s12
	s_delay_alu instid0(VALU_DEP_2) | instskip(NEXT) | instid1(VALU_DEP_2)
	v_cndmask_b32_e64 v15, v2, s12, s4
	v_ashrrev_i32_e32 v17, 31, v4
	s_delay_alu instid0(VALU_DEP_2) | instskip(SKIP_1) | instid1(VALU_DEP_1)
	v_ashrrev_i32_e32 v16, 31, v15
	v_add_co_u32 v15, s4, v15, v4
	v_add_co_ci_u32_e64 v16, s4, v16, v17, s4
	s_delay_alu instid0(VALU_DEP_1) | instskip(NEXT) | instid1(VALU_DEP_1)
	v_lshlrev_b64 v[15:16], 2, v[15:16]
	v_add_co_u32 v15, s4, s29, v15
	s_delay_alu instid0(VALU_DEP_1) | instskip(SKIP_3) | instid1(VALU_DEP_1)
	v_add_co_ci_u32_e64 v16, s4, s30, v16, s4
	global_load_b32 v4, v[15:16], off
	s_waitcnt vmcnt(0)
	v_cmp_eq_u32_e64 s4, s31, v4
	s_or_not1_b32 s35, s4, exec_lo
.LBB0_63:                               ;   in Loop: Header=BB0_11 Depth=1
	s_or_b32 exec_lo, exec_lo, s34
	s_delay_alu instid0(SALU_CYCLE_1)
	s_and_b32 s34, s35, exec_lo
.LBB0_64:                               ;   in Loop: Header=BB0_11 Depth=1
	s_or_b32 exec_lo, exec_lo, s33
	s_delay_alu instid0(SALU_CYCLE_1)
	s_or_not1_b32 s33, s34, exec_lo
.LBB0_65:                               ;   in Loop: Header=BB0_11 Depth=1
	s_or_b32 exec_lo, exec_lo, s5
	s_xor_b32 s5, s33, -1
	s_delay_alu instid0(SALU_CYCLE_1)
	s_and_saveexec_b32 s31, s5
; %bb.66:                               ;   in Loop: Header=BB0_11 Depth=1
	v_mad_u64_u32 v[15:16], null, v12, s12, v[2:3]
	v_mad_u64_u32 v[16:17], null, v11, s12, v[1:2]
	v_add_nc_u16 v4, v13, -1
	v_add_nc_u16 v17, v14, -1
	s_delay_alu instid0(VALU_DEP_4) | instskip(SKIP_2) | instid1(VALU_DEP_3)
	v_ashrrev_i32_e32 v13, 31, v15
	v_add_co_u32 v12, s4, s15, v15
	v_ashrrev_i32_e32 v18, 31, v16
	v_add_co_ci_u32_e64 v13, s4, s16, v13, s4
	v_add_co_u32 v14, s4, s15, v16
	s_delay_alu instid0(VALU_DEP_1)
	v_add_co_ci_u32_e64 v15, s4, s16, v18, s4
	s_clause 0x1
	global_store_b8 v[12:13], v4, off
	global_store_b8 v[14:15], v17, off
; %bb.67:                               ;   in Loop: Header=BB0_11 Depth=1
	s_or_b32 exec_lo, exec_lo, s31
	s_waitcnt_vscnt null, 0x0
	s_barrier
	buffer_gl0_inv
	s_and_saveexec_b32 s31, s5
	s_cbranch_execz .LBB0_10
; %bb.68:                               ;   in Loop: Header=BB0_11 Depth=1
	v_mad_u64_u32 v[12:13], null, v3, s12, v[2:3]
	s_delay_alu instid0(VALU_DEP_1) | instskip(SKIP_2) | instid1(VALU_DEP_3)
	v_ashrrev_i32_e32 v3, 31, v12
	v_add_co_u32 v2, s4, s15, v12
	v_add_nc_u32_e32 v12, 1, v1
	v_add_co_ci_u32_e64 v3, s4, s16, v3, s4
	v_cmp_ne_u32_e64 s4, s26, v1
	global_load_u8 v4, v[2:3], off
	v_cndmask_b32_e64 v1, 0, v12, s4
	s_delay_alu instid0(VALU_DEP_1) | instskip(NEXT) | instid1(VALU_DEP_1)
	v_mad_u64_u32 v[12:13], null, v11, s12, v[1:2]
	v_ashrrev_i32_e32 v1, 31, v12
	v_add_co_u32 v11, s4, s15, v12
	s_delay_alu instid0(VALU_DEP_1)
	v_add_co_ci_u32_e64 v12, s4, s16, v1, s4
	s_waitcnt vmcnt(0)
	v_add_nc_u16 v4, v4, 1
	global_store_b8 v[2:3], v4, off
	global_load_u8 v1, v[11:12], off
	s_waitcnt vmcnt(0)
	v_add_nc_u16 v1, v1, 1
	global_store_b8 v[11:12], v1, off
	s_branch .LBB0_10
.LBB0_69:
	s_and_not1_b32 vcc_lo, exec_lo, s20
	s_cbranch_vccnz .LBB0_72
; %bb.70:
	v_dual_mov_b32 v2, 0 :: v_dual_mov_b32 v1, v0
	s_delay_alu instid0(VALU_DEP_1)
	v_dual_mov_b32 v4, 0 :: v_dual_mov_b32 v3, v2
	s_set_inst_prefetch_distance 0x1
	.p2align	6
.LBB0_71:                               ; =>This Inner Loop Header: Depth=1
	s_delay_alu instid0(VALU_DEP_2) | instskip(SKIP_3) | instid1(VALU_DEP_2)
	v_lshlrev_b64 v[6:7], 2, v[1:2]
	s_add_i32 s18, s18, -1
	v_add_nc_u32_e32 v1, 0x100, v1
	s_cmp_lg_u32 s18, 0
	v_add_co_u32 v6, vcc_lo, s15, v6
	s_delay_alu instid0(VALU_DEP_3)
	v_add_co_ci_u32_e32 v7, vcc_lo, s16, v7, vcc_lo
	global_load_b32 v6, v[6:7], off
	s_waitcnt vmcnt(0)
	v_and_b32_e32 v7, 0xff, v6
	v_bfe_u32 v8, v6, 8, 8
	v_bfe_u32 v10, v6, 16, 8
	v_lshrrev_b32_e32 v6, 24, v6
	s_delay_alu instid0(VALU_DEP_4) | instskip(NEXT) | instid1(VALU_DEP_4)
	v_mul_u32_u24_e32 v9, v7, v7
	v_mul_u32_u24_e32 v11, v8, v8
	s_delay_alu instid0(VALU_DEP_4) | instskip(NEXT) | instid1(VALU_DEP_3)
	v_mul_u32_u24_e32 v12, v10, v10
	v_cvt_f32_u32_e32 v9, v9
	s_delay_alu instid0(VALU_DEP_3) | instskip(NEXT) | instid1(VALU_DEP_2)
	v_cvt_f32_u32_e32 v11, v11
	v_add_f32_e32 v4, v4, v9
	v_max_i32_e32 v3, v3, v7
	v_mul_u32_u24_e32 v7, v6, v6
	v_cvt_f32_u32_e32 v9, v12
	s_delay_alu instid0(VALU_DEP_4) | instskip(NEXT) | instid1(VALU_DEP_4)
	v_add_f32_e32 v4, v4, v11
	v_max_u32_e32 v3, v3, v8
	s_delay_alu instid0(VALU_DEP_4) | instskip(NEXT) | instid1(VALU_DEP_3)
	v_cvt_f32_u32_e32 v7, v7
	v_add_f32_e32 v4, v4, v9
	s_delay_alu instid0(VALU_DEP_3) | instskip(NEXT) | instid1(VALU_DEP_2)
	v_max3_u32 v3, v3, v10, v6
	v_add_f32_e32 v4, v4, v7
	s_cbranch_scc1 .LBB0_71
	s_branch .LBB0_73
.LBB0_72:
	v_dual_mov_b32 v3, 0 :: v_dual_mov_b32 v4, 0
.LBB0_73:
	s_set_inst_prefetch_distance 0x2
	s_and_b32 s1, s17, 0xfe
	s_delay_alu instid0(SALU_CYCLE_1) | instskip(NEXT) | instid1(SALU_CYCLE_1)
	s_add_i32 s1, s1, -1
	v_cmp_ge_u32_e32 vcc_lo, s1, v0
	s_and_saveexec_b32 s1, vcc_lo
	s_cbranch_execz .LBB0_75
; %bb.74:
	v_dual_mov_b32 v2, 0 :: v_dual_add_nc_u32 v1, s19, v0
	s_delay_alu instid0(VALU_DEP_1) | instskip(NEXT) | instid1(VALU_DEP_1)
	v_lshlrev_b64 v[1:2], 2, v[1:2]
	v_add_co_u32 v1, vcc_lo, s15, v1
	s_delay_alu instid0(VALU_DEP_2)
	v_add_co_ci_u32_e32 v2, vcc_lo, s16, v2, vcc_lo
	global_load_b32 v1, v[1:2], off
	s_waitcnt vmcnt(0)
	v_and_b32_e32 v2, 0xff, v1
	v_bfe_u32 v6, v1, 8, 8
	v_bfe_u32 v8, v1, 16, 8
	v_lshrrev_b32_e32 v1, 24, v1
	s_delay_alu instid0(VALU_DEP_4) | instskip(NEXT) | instid1(VALU_DEP_4)
	v_mul_u32_u24_e32 v7, v2, v2
	v_mul_u32_u24_e32 v9, v6, v6
	s_delay_alu instid0(VALU_DEP_4) | instskip(SKIP_1) | instid1(VALU_DEP_4)
	v_mul_u32_u24_e32 v10, v8, v8
	v_max3_u32 v2, v3, v2, v6
	v_cvt_f32_u32_e32 v7, v7
	s_delay_alu instid0(VALU_DEP_4) | instskip(NEXT) | instid1(VALU_DEP_4)
	v_cvt_f32_u32_e32 v9, v9
	v_cvt_f32_u32_e32 v10, v10
	s_delay_alu instid0(VALU_DEP_4) | instskip(NEXT) | instid1(VALU_DEP_4)
	v_max3_u32 v3, v2, v8, v1
	v_add_f32_e32 v4, v4, v7
	v_mul_u32_u24_e32 v7, v1, v1
	s_delay_alu instid0(VALU_DEP_2) | instskip(NEXT) | instid1(VALU_DEP_2)
	v_add_f32_e32 v4, v4, v9
	v_cvt_f32_u32_e32 v7, v7
	s_delay_alu instid0(VALU_DEP_2) | instskip(NEXT) | instid1(VALU_DEP_1)
	v_add_f32_e32 v4, v4, v10
	v_add_f32_e32 v4, v4, v7
.LBB0_75:
	s_or_b32 exec_lo, exec_lo, s1
	s_delay_alu instid0(SALU_CYCLE_1)
	s_mov_b32 s1, exec_lo
	ds_store_2addr_stride64_b32 v5, v4, v3 offset1:4
	s_waitcnt lgkmcnt(0)
	s_barrier
	buffer_gl0_inv
	v_cmpx_gt_u32_e32 0x80, v0
	s_cbranch_execz .LBB0_78
; %bb.76:
	ds_load_2addr_stride64_b32 v[3:4], v5 offset1:2
	ds_load_2addr_stride64_b32 v[1:2], v5 offset0:4 offset1:6
	s_waitcnt lgkmcnt(1)
	v_add_f32_e32 v3, v4, v3
	s_waitcnt lgkmcnt(0)
	v_cmp_lt_u32_e32 vcc_lo, v1, v2
	ds_store_b32 v5, v3
	s_and_b32 exec_lo, exec_lo, vcc_lo
	s_cbranch_execz .LBB0_78
; %bb.77:
	ds_store_b32 v5, v2 offset:1024
.LBB0_78:
	s_or_b32 exec_lo, exec_lo, s1
	s_delay_alu instid0(SALU_CYCLE_1)
	s_mov_b32 s1, exec_lo
	s_waitcnt lgkmcnt(0)
	s_barrier
	buffer_gl0_inv
	v_cmpx_gt_u32_e32 64, v0
	s_cbranch_execz .LBB0_81
; %bb.79:
	ds_load_2addr_stride64_b32 v[3:4], v5 offset1:1
	ds_load_2addr_stride64_b32 v[1:2], v5 offset0:4 offset1:5
	s_waitcnt lgkmcnt(1)
	v_add_f32_e32 v3, v4, v3
	s_waitcnt lgkmcnt(0)
	v_cmp_lt_u32_e32 vcc_lo, v1, v2
	ds_store_b32 v5, v3
	s_and_b32 exec_lo, exec_lo, vcc_lo
	s_cbranch_execz .LBB0_81
; %bb.80:
	ds_store_b32 v5, v2 offset:1024
.LBB0_81:
	s_or_b32 exec_lo, exec_lo, s1
	s_delay_alu instid0(SALU_CYCLE_1)
	s_mov_b32 s1, exec_lo
	s_waitcnt lgkmcnt(0)
	s_barrier
	buffer_gl0_inv
	v_cmpx_gt_u32_e32 32, v0
	s_cbranch_execz .LBB0_84
; %bb.82:
	v_add_nc_u32_e32 v1, 0x400, v5
	ds_load_2addr_b32 v[3:4], v5 offset1:32
	ds_load_2addr_b32 v[1:2], v1 offset1:32
	s_waitcnt lgkmcnt(1)
	v_add_f32_e32 v3, v4, v3
	s_waitcnt lgkmcnt(0)
	v_cmp_lt_u32_e32 vcc_lo, v1, v2
	ds_store_b32 v5, v3
	s_and_b32 exec_lo, exec_lo, vcc_lo
	s_cbranch_execz .LBB0_84
; %bb.83:
	ds_store_b32 v5, v2 offset:1024
.LBB0_84:
	s_or_b32 exec_lo, exec_lo, s1
	s_delay_alu instid0(SALU_CYCLE_1)
	s_mov_b32 s1, exec_lo
	s_waitcnt lgkmcnt(0)
	s_barrier
	buffer_gl0_inv
	v_cmpx_gt_u32_e32 16, v0
	s_cbranch_execz .LBB0_87
; %bb.85:
	v_add_nc_u32_e32 v1, 0x400, v5
	ds_load_2addr_b32 v[3:4], v5 offset1:16
	ds_load_2addr_b32 v[1:2], v1 offset1:16
	s_waitcnt lgkmcnt(1)
	v_add_f32_e32 v3, v4, v3
	s_waitcnt lgkmcnt(0)
	v_cmp_lt_u32_e32 vcc_lo, v1, v2
	ds_store_b32 v5, v3
	s_and_b32 exec_lo, exec_lo, vcc_lo
	s_cbranch_execz .LBB0_87
; %bb.86:
	ds_store_b32 v5, v2 offset:1024
.LBB0_87:
	;; [unrolled: 22-line block ×5, first 2 shown]
	s_or_b32 exec_lo, exec_lo, s1
	s_waitcnt lgkmcnt(0)
	s_barrier
	buffer_gl0_inv
	s_and_saveexec_b32 s1, s0
	s_cbranch_execz .LBB0_99
; %bb.97:
	v_add_nc_u32_e64 v0, 4, 0
	ds_load_2addr_stride64_b32 v[0:1], v0 offset1:4
	ds_load_2addr_stride64_b32 v[2:3], v5 offset1:4
	s_waitcnt lgkmcnt(0)
	v_add_f32_e32 v0, v0, v2
	v_cmp_lt_u32_e32 vcc_lo, v3, v1
	ds_store_b32 v5, v0
	s_and_b32 exec_lo, exec_lo, vcc_lo
	s_cbranch_execz .LBB0_99
; %bb.98:
	ds_store_b32 v5, v1 offset:1024
.LBB0_99:
	s_or_b32 exec_lo, exec_lo, s1
	s_waitcnt lgkmcnt(0)
	s_barrier
	buffer_gl0_inv
	s_and_saveexec_b32 s1, s0
	s_cbranch_execz .LBB0_101
; %bb.100:
	v_mov_b32_e32 v2, 0
	v_cvt_f32_u32_e32 v3, s7
	s_mov_b32 s7, 0
	s_delay_alu instid0(SALU_CYCLE_1)
	s_lshl_b64 s[0:1], s[6:7], 2
	ds_load_2addr_stride64_b32 v[0:1], v2 offset1:4
	s_add_u32 s2, s8, s0
	s_addc_u32 s3, s9, s1
	s_add_u32 s0, s10, s0
	s_addc_u32 s1, s11, s1
	s_waitcnt lgkmcnt(0)
	v_div_scale_f32 v4, null, v3, v3, v0
	v_div_scale_f32 v7, vcc_lo, v0, v3, v0
	s_delay_alu instid0(VALU_DEP_2) | instskip(SKIP_2) | instid1(VALU_DEP_1)
	v_rcp_f32_e32 v5, v4
	s_waitcnt_depctr 0xfff
	v_fma_f32 v6, -v4, v5, 1.0
	v_fmac_f32_e32 v5, v6, v5
	s_delay_alu instid0(VALU_DEP_1) | instskip(NEXT) | instid1(VALU_DEP_1)
	v_mul_f32_e32 v6, v7, v5
	v_fma_f32 v8, -v4, v6, v7
	s_delay_alu instid0(VALU_DEP_1) | instskip(NEXT) | instid1(VALU_DEP_1)
	v_fmac_f32_e32 v6, v8, v5
	v_fma_f32 v4, -v4, v6, v7
	s_delay_alu instid0(VALU_DEP_1) | instskip(NEXT) | instid1(VALU_DEP_1)
	v_div_fmas_f32 v4, v4, v5, v6
	v_div_fixup_f32 v0, v4, v3, v0
	s_delay_alu instid0(VALU_DEP_1)
	v_add_f32_e32 v0, -1.0, v0
	s_clause 0x1
	global_store_b32 v2, v0, s[2:3]
	global_store_b32 v2, v1, s[0:1]
.LBB0_101:
	s_nop 0
	s_sendmsg sendmsg(MSG_DEALLOC_VGPRS)
	s_endpgm
	.section	.rodata,"a",@progbits
	.p2align	6, 0x0
	.amdhsa_kernel _Z14PetrinetKernelPiPfS_iii
		.amdhsa_group_segment_fixed_size 2496
		.amdhsa_private_segment_fixed_size 0
		.amdhsa_kernarg_size 36
		.amdhsa_user_sgpr_count 15
		.amdhsa_user_sgpr_dispatch_ptr 0
		.amdhsa_user_sgpr_queue_ptr 0
		.amdhsa_user_sgpr_kernarg_segment_ptr 1
		.amdhsa_user_sgpr_dispatch_id 0
		.amdhsa_user_sgpr_private_segment_size 0
		.amdhsa_wavefront_size32 1
		.amdhsa_uses_dynamic_stack 0
		.amdhsa_enable_private_segment 0
		.amdhsa_system_sgpr_workgroup_id_x 1
		.amdhsa_system_sgpr_workgroup_id_y 0
		.amdhsa_system_sgpr_workgroup_id_z 0
		.amdhsa_system_sgpr_workgroup_info 0
		.amdhsa_system_vgpr_workitem_id 0
		.amdhsa_next_free_vgpr 21
		.amdhsa_next_free_sgpr 37
		.amdhsa_reserve_vcc 1
		.amdhsa_float_round_mode_32 0
		.amdhsa_float_round_mode_16_64 0
		.amdhsa_float_denorm_mode_32 3
		.amdhsa_float_denorm_mode_16_64 3
		.amdhsa_dx10_clamp 1
		.amdhsa_ieee_mode 1
		.amdhsa_fp16_overflow 0
		.amdhsa_workgroup_processor_mode 1
		.amdhsa_memory_ordered 1
		.amdhsa_forward_progress 0
		.amdhsa_shared_vgpr_count 0
		.amdhsa_exception_fp_ieee_invalid_op 0
		.amdhsa_exception_fp_denorm_src 0
		.amdhsa_exception_fp_ieee_div_zero 0
		.amdhsa_exception_fp_ieee_overflow 0
		.amdhsa_exception_fp_ieee_underflow 0
		.amdhsa_exception_fp_ieee_inexact 0
		.amdhsa_exception_int_div_zero 0
	.end_amdhsa_kernel
	.text
.Lfunc_end0:
	.size	_Z14PetrinetKernelPiPfS_iii, .Lfunc_end0-_Z14PetrinetKernelPiPfS_iii
                                        ; -- End function
	.section	.AMDGPU.csdata,"",@progbits
; Kernel info:
; codeLenInByte = 6104
; NumSgprs: 39
; NumVgprs: 21
; ScratchSize: 0
; MemoryBound: 0
; FloatMode: 240
; IeeeMode: 1
; LDSByteSize: 2496 bytes/workgroup (compile time only)
; SGPRBlocks: 4
; VGPRBlocks: 2
; NumSGPRsForWavesPerEU: 39
; NumVGPRsForWavesPerEU: 21
; Occupancy: 16
; WaveLimiterHint : 0
; COMPUTE_PGM_RSRC2:SCRATCH_EN: 0
; COMPUTE_PGM_RSRC2:USER_SGPR: 15
; COMPUTE_PGM_RSRC2:TRAP_HANDLER: 0
; COMPUTE_PGM_RSRC2:TGID_X_EN: 1
; COMPUTE_PGM_RSRC2:TGID_Y_EN: 0
; COMPUTE_PGM_RSRC2:TGID_Z_EN: 0
; COMPUTE_PGM_RSRC2:TIDIG_COMP_CNT: 0
	.text
	.p2alignl 7, 3214868480
	.fill 96, 4, 3214868480
	.type	__hip_cuid_6f7cc7d1dfe6cbc6,@object ; @__hip_cuid_6f7cc7d1dfe6cbc6
	.section	.bss,"aw",@nobits
	.globl	__hip_cuid_6f7cc7d1dfe6cbc6
__hip_cuid_6f7cc7d1dfe6cbc6:
	.byte	0                               ; 0x0
	.size	__hip_cuid_6f7cc7d1dfe6cbc6, 1

	.ident	"AMD clang version 19.0.0git (https://github.com/RadeonOpenCompute/llvm-project roc-6.4.0 25133 c7fe45cf4b819c5991fe208aaa96edf142730f1d)"
	.section	".note.GNU-stack","",@progbits
	.addrsig
	.addrsig_sym __hip_cuid_6f7cc7d1dfe6cbc6
	.amdgpu_metadata
---
amdhsa.kernels:
  - .args:
      - .address_space:  global
        .offset:         0
        .size:           8
        .value_kind:     global_buffer
      - .actual_access:  write_only
        .address_space:  global
        .offset:         8
        .size:           8
        .value_kind:     global_buffer
      - .actual_access:  write_only
        .address_space:  global
        .offset:         16
        .size:           8
        .value_kind:     global_buffer
      - .offset:         24
        .size:           4
        .value_kind:     by_value
      - .offset:         28
        .size:           4
        .value_kind:     by_value
      - .offset:         32
        .size:           4
        .value_kind:     by_value
    .group_segment_fixed_size: 2496
    .kernarg_segment_align: 8
    .kernarg_segment_size: 36
    .language:       OpenCL C
    .language_version:
      - 2
      - 0
    .max_flat_workgroup_size: 1024
    .name:           _Z14PetrinetKernelPiPfS_iii
    .private_segment_fixed_size: 0
    .sgpr_count:     39
    .sgpr_spill_count: 0
    .symbol:         _Z14PetrinetKernelPiPfS_iii.kd
    .uniform_work_group_size: 1
    .uses_dynamic_stack: false
    .vgpr_count:     21
    .vgpr_spill_count: 0
    .wavefront_size: 32
    .workgroup_processor_mode: 1
amdhsa.target:   amdgcn-amd-amdhsa--gfx1100
amdhsa.version:
  - 1
  - 2
...

	.end_amdgpu_metadata
